;; amdgpu-corpus repo=ROCm/rocFFT kind=compiled arch=gfx1201 opt=O3
	.text
	.amdgcn_target "amdgcn-amd-amdhsa--gfx1201"
	.amdhsa_code_object_version 6
	.protected	bluestein_single_back_len875_dim1_sp_op_CI_CI ; -- Begin function bluestein_single_back_len875_dim1_sp_op_CI_CI
	.globl	bluestein_single_back_len875_dim1_sp_op_CI_CI
	.p2align	8
	.type	bluestein_single_back_len875_dim1_sp_op_CI_CI,@function
bluestein_single_back_len875_dim1_sp_op_CI_CI: ; @bluestein_single_back_len875_dim1_sp_op_CI_CI
; %bb.0:
	s_load_b128 s[8:11], s[0:1], 0x28
	v_mul_u32_u24_e32 v1, 0x177, v0
	s_mov_b32 s2, exec_lo
	v_mov_b32_e32 v37, 0
	s_delay_alu instid0(VALU_DEP_2) | instskip(NEXT) | instid1(VALU_DEP_1)
	v_lshrrev_b32_e32 v1, 16, v1
	v_add_nc_u32_e32 v36, ttmp9, v1
	s_wait_kmcnt 0x0
	s_delay_alu instid0(VALU_DEP_1)
	v_cmpx_gt_u64_e64 s[8:9], v[36:37]
	s_cbranch_execz .LBB0_15
; %bb.1:
	s_clause 0x1
	s_load_b64 s[12:13], s[0:1], 0x0
	s_load_b64 s[8:9], s[0:1], 0x38
	v_mul_lo_u16 v1, 0xaf, v1
	s_delay_alu instid0(VALU_DEP_1) | instskip(NEXT) | instid1(VALU_DEP_1)
	v_sub_nc_u16 v0, v0, v1
	v_and_b32_e32 v39, 0xffff, v0
	v_cmp_gt_u16_e32 vcc_lo, 0x7d, v0
	s_delay_alu instid0(VALU_DEP_2)
	v_lshlrev_b32_e32 v40, 3, v39
	s_and_saveexec_b32 s3, vcc_lo
	s_cbranch_execz .LBB0_3
; %bb.2:
	s_load_b64 s[4:5], s[0:1], 0x18
	s_delay_alu instid0(VALU_DEP_1)
	v_add_nc_u32_e32 v30, 0x400, v40
	v_add_nc_u32_e32 v31, 0xc00, v40
	s_wait_kmcnt 0x0
	s_load_b128 s[4:7], s[4:5], 0x0
	s_wait_kmcnt 0x0
	v_mad_co_u64_u32 v[0:1], null, s6, v36, 0
	v_mad_co_u64_u32 v[2:3], null, s4, v39, 0
	s_delay_alu instid0(VALU_DEP_1) | instskip(NEXT) | instid1(VALU_DEP_1)
	v_mad_co_u64_u32 v[4:5], null, s7, v36, v[1:2]
	v_mad_co_u64_u32 v[5:6], null, s5, v39, v[3:4]
	v_mov_b32_e32 v1, v4
	s_mul_u64 s[4:5], s[4:5], 0x3e8
	s_delay_alu instid0(VALU_DEP_1) | instskip(NEXT) | instid1(VALU_DEP_3)
	v_lshlrev_b64_e32 v[0:1], 3, v[0:1]
	v_mov_b32_e32 v3, v5
	s_delay_alu instid0(VALU_DEP_1) | instskip(NEXT) | instid1(VALU_DEP_3)
	v_lshlrev_b64_e32 v[2:3], 3, v[2:3]
	v_add_co_u32 v10, s2, s10, v0
	s_delay_alu instid0(VALU_DEP_1)
	v_add_co_ci_u32_e64 v11, s2, s11, v1, s2
	s_clause 0x3
	global_load_b64 v[0:1], v40, s[12:13]
	global_load_b64 v[4:5], v40, s[12:13] offset:1000
	global_load_b64 v[6:7], v40, s[12:13] offset:2000
	;; [unrolled: 1-line block ×3, first 2 shown]
	v_add_co_u32 v2, s2, v10, v2
	s_wait_alu 0xf1ff
	v_add_co_ci_u32_e64 v3, s2, v11, v3, s2
	global_load_b64 v[12:13], v40, s[12:13] offset:4000
	s_wait_alu 0xfffe
	v_add_co_u32 v10, s2, v2, s4
	s_wait_alu 0xf1ff
	v_add_co_ci_u32_e64 v11, s2, s5, v3, s2
	global_load_b64 v[2:3], v[2:3], off
	v_add_co_u32 v14, s2, v10, s4
	s_wait_alu 0xf1ff
	v_add_co_ci_u32_e64 v15, s2, s5, v11, s2
	global_load_b64 v[10:11], v[10:11], off
	v_add_co_u32 v16, s2, v14, s4
	s_wait_alu 0xf1ff
	v_add_co_ci_u32_e64 v17, s2, s5, v15, s2
	s_delay_alu instid0(VALU_DEP_2) | instskip(SKIP_1) | instid1(VALU_DEP_2)
	v_add_co_u32 v18, s2, v16, s4
	s_wait_alu 0xf1ff
	v_add_co_ci_u32_e64 v19, s2, s5, v17, s2
	s_clause 0x1
	global_load_b64 v[14:15], v[14:15], off
	global_load_b64 v[16:17], v[16:17], off
	v_add_co_u32 v20, s2, v18, s4
	s_wait_alu 0xf1ff
	v_add_co_ci_u32_e64 v21, s2, s5, v19, s2
	global_load_b64 v[18:19], v[18:19], off
	v_add_co_u32 v22, s2, v20, s4
	s_wait_alu 0xf1ff
	v_add_co_ci_u32_e64 v23, s2, s5, v21, s2
	global_load_b64 v[20:21], v[20:21], off
	s_clause 0x1
	global_load_b64 v[24:25], v40, s[12:13] offset:5000
	global_load_b64 v[26:27], v40, s[12:13] offset:6000
	global_load_b64 v[22:23], v[22:23], off
	s_wait_loadcnt 0x8
	v_mul_f32_e32 v28, v3, v1
	v_mul_f32_e32 v29, v2, v1
	s_wait_loadcnt 0x7
	v_mul_f32_e32 v1, v11, v5
	v_mul_f32_e32 v5, v10, v5
	v_fmac_f32_e32 v28, v2, v0
	v_fma_f32 v29, v3, v0, -v29
	s_delay_alu instid0(VALU_DEP_3)
	v_fma_f32 v2, v11, v4, -v5
	s_wait_loadcnt 0x6
	v_mul_f32_e32 v0, v14, v7
	v_mul_f32_e32 v3, v15, v7
	s_wait_loadcnt 0x5
	v_mul_f32_e32 v5, v17, v9
	v_mul_f32_e32 v9, v16, v9
	v_fmac_f32_e32 v1, v10, v4
	v_fma_f32 v4, v15, v6, -v0
	s_wait_loadcnt 0x4
	v_mul_f32_e32 v7, v19, v13
	v_mul_f32_e32 v0, v18, v13
	s_wait_loadcnt 0x2
	v_dual_fmac_f32 v3, v14, v6 :: v_dual_mul_f32 v10, v20, v25
	v_fma_f32 v6, v17, v8, -v9
	v_mul_f32_e32 v9, v21, v25
	s_wait_loadcnt 0x0
	v_mul_f32_e32 v11, v23, v27
	v_mul_f32_e32 v13, v22, v27
	v_fmac_f32_e32 v5, v16, v8
	v_fmac_f32_e32 v7, v18, v12
	v_fma_f32 v8, v19, v12, -v0
	v_fmac_f32_e32 v9, v20, v24
	v_fma_f32 v10, v21, v24, -v10
	;; [unrolled: 2-line block ×3, first 2 shown]
	ds_store_2addr_b64 v40, v[28:29], v[1:2] offset1:125
	ds_store_2addr_b64 v30, v[3:4], v[5:6] offset0:122 offset1:247
	ds_store_2addr_b64 v31, v[7:8], v[9:10] offset0:116 offset1:241
	ds_store_b64 v40, v[11:12] offset:6000
.LBB0_3:
	s_or_b32 exec_lo, exec_lo, s3
	s_clause 0x1
	s_load_b64 s[2:3], s[0:1], 0x20
	s_load_b64 s[4:5], s[0:1], 0x8
	v_mov_b32_e32 v2, 0
	v_mov_b32_e32 v3, 0
	s_delay_alu instid0(VALU_DEP_2)
	v_mov_b32_e32 v0, v2
	global_wb scope:SCOPE_SE
	s_wait_dscnt 0x0
	s_wait_kmcnt 0x0
	s_barrier_signal -1
	s_barrier_wait -1
	v_mov_b32_e32 v1, v3
	v_dual_mov_b32 v5, v3 :: v_dual_mov_b32 v4, v2
	v_dual_mov_b32 v9, v3 :: v_dual_mov_b32 v8, v2
	global_inv scope:SCOPE_SE
                                        ; implicit-def: $vgpr12
	s_and_saveexec_b32 s0, vcc_lo
	s_cbranch_execz .LBB0_5
; %bb.4:
	v_add_nc_u32_e32 v4, 0x400, v40
	v_add_nc_u32_e32 v8, 0xc00, v40
	ds_load_2addr_b64 v[0:3], v40 offset1:125
	ds_load_2addr_b64 v[4:7], v4 offset0:122 offset1:247
	ds_load_2addr_b64 v[8:11], v8 offset0:116 offset1:241
	ds_load_b64 v[12:13], v40 offset:6000
.LBB0_5:
	s_wait_alu 0xfffe
	s_or_b32 exec_lo, exec_lo, s0
	s_wait_dscnt 0x0
	v_dual_add_f32 v14, v12, v2 :: v_dual_add_f32 v15, v13, v3
	v_dual_add_f32 v16, v10, v4 :: v_dual_add_f32 v17, v11, v5
	v_dual_sub_f32 v12, v2, v12 :: v_dual_sub_f32 v13, v3, v13
	v_dual_sub_f32 v4, v4, v10 :: v_dual_sub_f32 v5, v5, v11
	v_dual_add_f32 v10, v6, v8 :: v_dual_add_f32 v11, v7, v9
	v_dual_sub_f32 v6, v8, v6 :: v_dual_sub_f32 v7, v9, v7
	v_dual_add_f32 v8, v14, v16 :: v_dual_add_f32 v9, v15, v17
	v_dual_sub_f32 v2, v16, v14 :: v_dual_sub_f32 v3, v17, v15
	s_delay_alu instid0(VALU_DEP_4) | instskip(SKIP_4) | instid1(VALU_DEP_3)
	v_dual_sub_f32 v18, v14, v10 :: v_dual_sub_f32 v19, v15, v11
	v_dual_sub_f32 v16, v10, v16 :: v_dual_sub_f32 v17, v11, v17
	v_dual_add_f32 v14, v4, v6 :: v_dual_add_f32 v15, v5, v7
	v_sub_f32_e32 v23, v7, v5
	v_dual_sub_f32 v7, v13, v7 :: v_dual_add_f32 v8, v8, v10
	v_dual_add_f32 v9, v9, v11 :: v_dual_add_f32 v14, v12, v14
	v_dual_sub_f32 v21, v6, v4 :: v_dual_sub_f32 v6, v12, v6
	v_dual_sub_f32 v4, v4, v12 :: v_dual_sub_f32 v5, v5, v13
	s_delay_alu instid0(VALU_DEP_4) | instskip(NEXT) | instid1(VALU_DEP_4)
	v_dual_add_f32 v0, v8, v0 :: v_dual_add_f32 v15, v13, v15
	v_dual_mul_f32 v10, 0x3d64c772, v16 :: v_dual_add_f32 v1, v9, v1
	v_mul_f32_e32 v16, 0xbf08b237, v23
	v_mul_f32_e32 v11, 0x3f4a47b2, v18
	;; [unrolled: 1-line block ×4, first 2 shown]
	v_fmamk_f32 v12, v8, 0xbf955555, v0
	v_fmamk_f32 v8, v18, 0x3f4a47b2, v10
	v_mul_f32_e32 v20, 0x3d64c772, v17
	v_fmamk_f32 v17, v9, 0xbf955555, v1
	v_mul_f32_e32 v21, 0x3f5ff5aa, v5
	v_fmamk_f32 v4, v6, 0x3eae86e6, v22
	v_fmamk_f32 v5, v7, 0x3eae86e6, v16
	v_fma_f32 v9, 0xbeae86e6, v6, -v23
	v_mul_lo_u16 v41, v39, 7
	v_fma_f32 v6, 0xbeae86e6, v7, -v21
	v_add_f32_e32 v7, v8, v12
	v_dual_mul_f32 v13, 0x3f4a47b2, v19 :: v_dual_fmamk_f32 v18, v19, 0x3f4a47b2, v20
	v_fma_f32 v19, 0xbf3bfb3b, v2, -v11
	s_delay_alu instid0(VALU_DEP_4) | instskip(NEXT) | instid1(VALU_DEP_3)
	v_dual_fmac_f32 v9, 0x3ee1c552, v14 :: v_dual_fmac_f32 v6, 0x3ee1c552, v15
	v_fma_f32 v13, 0xbf3bfb3b, v3, -v13
	s_delay_alu instid0(VALU_DEP_3)
	v_dual_add_f32 v11, v18, v17 :: v_dual_add_f32 v8, v19, v12
	global_wb scope:SCOPE_SE
	s_barrier_signal -1
	v_dual_add_f32 v13, v13, v17 :: v_dual_fmac_f32 v4, 0x3ee1c552, v14
	v_sub_f32_e32 v18, v8, v6
	s_barrier_wait -1
	global_inv scope:SCOPE_SE
	v_dual_add_f32 v19, v9, v13 :: v_dual_add_f32 v38, v4, v11
	v_fmac_f32_e32 v5, 0x3ee1c552, v15
	s_delay_alu instid0(VALU_DEP_1)
	v_sub_f32_e32 v37, v7, v5
	s_and_saveexec_b32 s0, vcc_lo
	s_cbranch_execz .LBB0_7
; %bb.6:
	v_dual_mul_f32 v3, 0x3f3bfb3b, v3 :: v_dual_mul_f32 v2, 0x3f3bfb3b, v2
	v_dual_mul_f32 v14, 0x3ee1c552, v14 :: v_dual_mul_f32 v15, 0x3ee1c552, v15
	v_dual_sub_f32 v22, v23, v22 :: v_dual_sub_f32 v9, v13, v9
	s_delay_alu instid0(VALU_DEP_3) | instskip(NEXT) | instid1(VALU_DEP_2)
	v_dual_sub_f32 v3, v3, v20 :: v_dual_sub_f32 v2, v2, v10
	v_dual_sub_f32 v11, v11, v4 :: v_dual_add_f32 v10, v22, v14
	v_add_f32_e32 v8, v8, v6
	s_delay_alu instid0(VALU_DEP_3) | instskip(SKIP_2) | instid1(VALU_DEP_3)
	v_add_f32_e32 v14, v3, v17
	v_sub_f32_e32 v16, v21, v16
	v_add_f32_e32 v2, v2, v12
	v_dual_sub_f32 v3, v14, v10 :: v_dual_and_b32 v12, 0xffff, v41
	s_delay_alu instid0(VALU_DEP_3) | instskip(SKIP_1) | instid1(VALU_DEP_3)
	v_dual_add_f32 v16, v16, v15 :: v_dual_add_f32 v15, v10, v14
	v_add_f32_e32 v10, v7, v5
	v_lshlrev_b32_e32 v4, 3, v12
	s_delay_alu instid0(VALU_DEP_3)
	v_sub_f32_e32 v14, v2, v16
	v_add_f32_e32 v2, v2, v16
	ds_store_2addr_b64 v4, v[0:1], v[10:11] offset1:1
	ds_store_2addr_b64 v4, v[8:9], v[14:15] offset0:2 offset1:3
	ds_store_2addr_b64 v4, v[2:3], v[18:19] offset0:4 offset1:5
	ds_store_b64 v4, v[37:38] offset:48
.LBB0_7:
	s_wait_alu 0xfffe
	s_or_b32 exec_lo, exec_lo, s0
	v_and_b32_e32 v8, 0xff, v39
	s_load_b128 s[0:3], s[2:3], 0x0
	global_wb scope:SCOPE_SE
	s_wait_dscnt 0x0
	s_wait_kmcnt 0x0
	s_barrier_signal -1
	s_barrier_wait -1
	v_mul_lo_u16 v0, v8, 37
	global_inv scope:SCOPE_SE
	v_mul_lo_u16 v8, 0xeb, v8
	v_lshrrev_b16 v0, 8, v0
	s_delay_alu instid0(VALU_DEP_2) | instskip(NEXT) | instid1(VALU_DEP_2)
	v_lshrrev_b16 v28, 13, v8
	v_sub_nc_u16 v1, v39, v0
	s_delay_alu instid0(VALU_DEP_2) | instskip(NEXT) | instid1(VALU_DEP_2)
	v_mul_lo_u16 v22, v28, 35
	v_lshrrev_b16 v1, 1, v1
	s_delay_alu instid0(VALU_DEP_2) | instskip(NEXT) | instid1(VALU_DEP_2)
	v_sub_nc_u16 v22, v39, v22
	v_and_b32_e32 v1, 0x7f, v1
	s_delay_alu instid0(VALU_DEP_1) | instskip(NEXT) | instid1(VALU_DEP_1)
	v_add_nc_u16 v0, v1, v0
	v_lshrrev_b16 v20, 2, v0
	s_delay_alu instid0(VALU_DEP_1) | instskip(NEXT) | instid1(VALU_DEP_1)
	v_mul_lo_u16 v0, v20, 7
	v_sub_nc_u16 v0, v39, v0
	s_delay_alu instid0(VALU_DEP_1) | instskip(NEXT) | instid1(VALU_DEP_1)
	v_and_b32_e32 v21, 0xff, v0
	v_lshlrev_b32_e32 v0, 5, v21
	s_clause 0x1
	global_load_b128 v[4:7], v0, s[4:5]
	global_load_b128 v[0:3], v0, s[4:5] offset:16
	v_add_nc_u32_e32 v44, 0xa00, v40
	ds_load_2addr_b64 v[8:11], v40 offset1:175
	ds_load_2addr_b64 v[12:15], v44 offset0:30 offset1:205
	ds_load_b64 v[16:17], v40 offset:5600
	v_and_b32_e32 v20, 0xffff, v20
	v_and_b32_e32 v29, 0xff, v22
	global_wb scope:SCOPE_SE
	s_wait_loadcnt_dscnt 0x0
	s_barrier_signal -1
	s_barrier_wait -1
	global_inv scope:SCOPE_SE
	v_dual_mul_f32 v23, v13, v7 :: v_dual_mul_f32 v26, v14, v1
	v_mul_f32_e32 v27, v17, v3
	v_mul_u32_u24_e32 v20, 35, v20
	v_dual_mul_f32 v25, v15, v1 :: v_dual_mul_f32 v24, v12, v7
	s_delay_alu instid0(VALU_DEP_2) | instskip(SKIP_3) | instid1(VALU_DEP_3)
	v_add_lshl_u32 v42, v20, v21, 3
	v_mul_f32_e32 v20, v11, v5
	v_mul_f32_e32 v21, v10, v5
	v_lshlrev_b32_e32 v22, 5, v29
	v_fma_f32 v10, v10, v4, -v20
	s_delay_alu instid0(VALU_DEP_3)
	v_dual_fmac_f32 v21, v11, v4 :: v_dual_mul_f32 v30, v16, v3
	v_fma_f32 v11, v12, v6, -v23
	v_fma_f32 v12, v14, v0, -v25
	v_fma_f32 v16, v16, v2, -v27
	v_fmac_f32_e32 v24, v13, v6
	v_dual_fmac_f32 v26, v15, v0 :: v_dual_add_f32 v13, v8, v10
	v_sub_f32_e32 v15, v10, v11
	s_delay_alu instid0(VALU_DEP_4) | instskip(SKIP_4) | instid1(VALU_DEP_4)
	v_sub_f32_e32 v23, v16, v12
	v_dual_add_f32 v25, v10, v16 :: v_dual_fmac_f32 v30, v17, v2
	v_add_f32_e32 v14, v11, v12
	v_dual_sub_f32 v20, v24, v26 :: v_dual_sub_f32 v35, v11, v12
	v_dual_sub_f32 v27, v11, v10 :: v_dual_add_f32 v32, v9, v21
	v_sub_f32_e32 v17, v21, v30
	v_dual_add_f32 v33, v24, v26 :: v_dual_sub_f32 v34, v10, v16
	v_fma_f32 v10, -0.5, v14, v8
	v_fma_f32 v8, -0.5, v25, v8
	v_dual_sub_f32 v31, v12, v16 :: v_dual_add_f32 v46, v21, v30
	v_add_f32_e32 v13, v13, v11
	v_sub_f32_e32 v43, v21, v24
	v_sub_f32_e32 v21, v24, v21
	v_fma_f32 v11, -0.5, v33, v9
	v_fmamk_f32 v14, v20, 0xbf737871, v8
	v_dual_fmac_f32 v8, 0x3f737871, v20 :: v_dual_sub_f32 v45, v30, v26
	v_add_f32_e32 v25, v27, v31
	v_fma_f32 v9, -0.5, v46, v9
	s_delay_alu instid0(VALU_DEP_3)
	v_dual_add_f32 v27, v13, v12 :: v_dual_fmac_f32 v8, 0xbf167918, v17
	v_dual_fmamk_f32 v12, v17, 0x3f737871, v10 :: v_dual_add_f32 v23, v15, v23
	v_dual_add_f32 v15, v32, v24 :: v_dual_fmac_f32 v14, 0x3f167918, v17
	v_dual_fmac_f32 v10, 0xbf737871, v17 :: v_dual_sub_f32 v47, v26, v30
	v_dual_add_f32 v24, v43, v45 :: v_dual_fmamk_f32 v13, v34, 0xbf737871, v11
	v_add_f32_e32 v16, v27, v16
	s_delay_alu instid0(VALU_DEP_3)
	v_dual_add_f32 v26, v15, v26 :: v_dual_add_f32 v21, v21, v47
	v_fmamk_f32 v15, v35, 0x3f737871, v9
	v_fmac_f32_e32 v9, 0xbf737871, v35
	v_fmac_f32_e32 v11, 0x3f737871, v34
	;; [unrolled: 1-line block ×3, first 2 shown]
	v_dual_fmac_f32 v10, 0xbf167918, v20 :: v_dual_fmac_f32 v13, 0xbf167918, v35
	v_fmac_f32_e32 v15, 0xbf167918, v34
	v_fmac_f32_e32 v9, 0x3f167918, v34
	s_delay_alu instid0(VALU_DEP_4)
	v_dual_add_f32 v17, v26, v30 :: v_dual_fmac_f32 v12, 0x3e9e377a, v23
	v_lshlrev_b32_e32 v30, 5, v39
	v_fmac_f32_e32 v11, 0x3f167918, v35
	v_dual_fmac_f32 v10, 0x3e9e377a, v23 :: v_dual_fmac_f32 v13, 0x3e9e377a, v24
	v_fmac_f32_e32 v14, 0x3e9e377a, v25
	v_fmac_f32_e32 v8, 0x3e9e377a, v25
	;; [unrolled: 1-line block ×5, first 2 shown]
	ds_store_2addr_b64 v42, v[16:17], v[12:13] offset1:7
	ds_store_2addr_b64 v42, v[14:15], v[8:9] offset0:14 offset1:21
	ds_store_b64 v42, v[10:11] offset:224
	global_wb scope:SCOPE_SE
	s_wait_dscnt 0x0
	s_barrier_signal -1
	s_barrier_wait -1
	global_inv scope:SCOPE_SE
	s_clause 0x1
	global_load_b128 v[12:15], v22, s[4:5] offset:224
	global_load_b128 v[8:11], v22, s[4:5] offset:240
	ds_load_2addr_b64 v[20:23], v40 offset1:175
	ds_load_2addr_b64 v[24:27], v44 offset0:30 offset1:205
	ds_load_b64 v[16:17], v40 offset:5600
	v_and_b32_e32 v28, 0xffff, v28
	global_wb scope:SCOPE_SE
	s_wait_loadcnt_dscnt 0x0
	s_barrier_signal -1
	s_barrier_wait -1
	global_inv scope:SCOPE_SE
	v_mul_u32_u24_e32 v28, 0xaf, v28
	s_delay_alu instid0(VALU_DEP_1) | instskip(SKIP_3) | instid1(VALU_DEP_3)
	v_add_lshl_u32 v43, v28, v29, 3
	v_dual_mul_f32 v29, v22, v13 :: v_dual_mul_f32 v32, v24, v15
	v_mul_f32_e32 v34, v26, v9
	v_dual_mul_f32 v28, v23, v13 :: v_dual_mul_f32 v31, v25, v15
	v_dual_mul_f32 v33, v27, v9 :: v_dual_fmac_f32 v32, v25, v14
	s_delay_alu instid0(VALU_DEP_3) | instskip(NEXT) | instid1(VALU_DEP_3)
	v_dual_fmac_f32 v34, v27, v8 :: v_dual_mul_f32 v35, v17, v11
	v_fma_f32 v22, v22, v12, -v28
	v_fmac_f32_e32 v29, v23, v12
	v_mul_f32_e32 v45, v16, v11
	v_fma_f32 v23, v24, v14, -v31
	v_fma_f32 v24, v26, v8, -v33
	v_add_f32_e32 v48, v32, v34
	v_fma_f32 v26, v16, v10, -v35
	v_add_f32_e32 v16, v20, v22
	v_dual_sub_f32 v28, v32, v34 :: v_dual_sub_f32 v25, v22, v23
	v_sub_f32_e32 v35, v23, v22
	s_delay_alu instid0(VALU_DEP_4) | instskip(SKIP_4) | instid1(VALU_DEP_3)
	v_add_f32_e32 v33, v22, v26
	v_dual_sub_f32 v49, v22, v26 :: v_dual_sub_f32 v22, v29, v32
	v_fmac_f32_e32 v45, v17, v10
	v_dual_add_f32 v17, v23, v24 :: v_dual_sub_f32 v46, v24, v26
	v_dual_sub_f32 v50, v23, v24 :: v_dual_add_f32 v23, v16, v23
	v_add_f32_e32 v52, v29, v45
	s_delay_alu instid0(VALU_DEP_3)
	v_fma_f32 v16, -0.5, v17, v20
	v_fma_f32 v20, -0.5, v33, v20
	v_sub_f32_e32 v27, v29, v45
	v_sub_f32_e32 v31, v26, v24
	v_add_f32_e32 v33, v35, v46
	v_add_f32_e32 v35, v23, v24
	v_dual_add_f32 v47, v21, v29 :: v_dual_fmamk_f32 v24, v28, 0xbf737871, v20
	v_dual_fmac_f32 v20, 0x3f737871, v28 :: v_dual_sub_f32 v51, v45, v34
	v_fma_f32 v17, -0.5, v48, v21
	v_fma_f32 v21, -0.5, v52, v21
	v_add_f32_e32 v26, v35, v26
	s_delay_alu instid0(VALU_DEP_4)
	v_fmac_f32_e32 v20, 0xbf167918, v27
	v_add_f32_e32 v31, v25, v31
	v_add_f32_e32 v25, v47, v32
	v_dual_sub_f32 v29, v32, v29 :: v_dual_add_f32 v32, v22, v51
	v_fmamk_f32 v22, v27, 0x3f737871, v16
	v_fmac_f32_e32 v24, 0x3f167918, v27
	v_dual_fmamk_f32 v23, v49, 0xbf737871, v17 :: v_dual_fmac_f32 v16, 0xbf737871, v27
	v_fmac_f32_e32 v20, 0x3e9e377a, v33
	s_delay_alu instid0(VALU_DEP_4) | instskip(SKIP_4) | instid1(VALU_DEP_4)
	v_dual_fmac_f32 v22, 0x3f167918, v28 :: v_dual_sub_f32 v53, v34, v45
	v_dual_add_f32 v34, v25, v34 :: v_dual_fmamk_f32 v25, v50, 0x3f737871, v21
	v_fmac_f32_e32 v21, 0xbf737871, v50
	v_fmac_f32_e32 v17, 0x3f737871, v49
	v_dual_fmac_f32 v23, 0xbf167918, v50 :: v_dual_fmac_f32 v16, 0xbf167918, v28
	v_fmac_f32_e32 v25, 0xbf167918, v49
	s_delay_alu instid0(VALU_DEP_4)
	v_fmac_f32_e32 v21, 0x3f167918, v49
	v_dual_fmac_f32 v22, 0x3e9e377a, v31 :: v_dual_add_f32 v29, v29, v53
	v_fmac_f32_e32 v17, 0x3f167918, v50
	v_add_f32_e32 v27, v34, v45
	v_dual_fmac_f32 v23, 0x3e9e377a, v32 :: v_dual_fmac_f32 v16, 0x3e9e377a, v31
	v_fmac_f32_e32 v24, 0x3e9e377a, v33
	v_fmac_f32_e32 v25, 0x3e9e377a, v29
	v_fmac_f32_e32 v21, 0x3e9e377a, v29
	v_fmac_f32_e32 v17, 0x3e9e377a, v32
	ds_store_2addr_b64 v43, v[26:27], v[22:23] offset1:35
	ds_store_2addr_b64 v43, v[24:25], v[20:21] offset0:70 offset1:105
	ds_store_b64 v43, v[16:17] offset:1120
	global_wb scope:SCOPE_SE
	s_wait_dscnt 0x0
	s_barrier_signal -1
	s_barrier_wait -1
	global_inv scope:SCOPE_SE
	s_clause 0x1
	global_load_b128 v[24:27], v30, s[4:5] offset:1344
	global_load_b128 v[20:23], v30, s[4:5] offset:1360
	ds_load_2addr_b64 v[28:31], v40 offset1:175
	ds_load_2addr_b64 v[32:35], v44 offset0:30 offset1:205
	ds_load_b64 v[16:17], v40 offset:5600
	s_wait_loadcnt_dscnt 0x102
	v_mul_f32_e32 v46, v30, v25
	s_wait_dscnt 0x1
	v_mul_f32_e32 v48, v32, v27
	s_wait_loadcnt 0x0
	v_mul_f32_e32 v50, v34, v21
	s_wait_dscnt 0x0
	v_mul_f32_e32 v52, v16, v23
	v_fmac_f32_e32 v46, v31, v24
	v_fmac_f32_e32 v48, v33, v26
	;; [unrolled: 1-line block ×3, first 2 shown]
	s_delay_alu instid0(VALU_DEP_4) | instskip(NEXT) | instid1(VALU_DEP_4)
	v_fmac_f32_e32 v52, v17, v22
	v_add_f32_e32 v54, v29, v46
	s_delay_alu instid0(VALU_DEP_2) | instskip(SKIP_2) | instid1(VALU_DEP_2)
	v_dual_sub_f32 v58, v46, v48 :: v_dual_sub_f32 v59, v52, v50
	v_dual_mul_f32 v45, v31, v25 :: v_dual_add_f32 v60, v46, v52
	v_sub_f32_e32 v61, v50, v52
	v_fma_f32 v30, v30, v24, -v45
	v_sub_f32_e32 v45, v46, v52
	v_dual_mul_f32 v51, v17, v23 :: v_dual_sub_f32 v46, v48, v46
	v_mul_f32_e32 v47, v33, v27
	s_delay_alu instid0(VALU_DEP_2) | instskip(NEXT) | instid1(VALU_DEP_3)
	v_fma_f32 v33, v16, v22, -v51
	v_add_f32_e32 v46, v46, v61
	s_delay_alu instid0(VALU_DEP_3) | instskip(SKIP_1) | instid1(VALU_DEP_4)
	v_fma_f32 v31, v32, v26, -v47
	v_add_f32_e32 v16, v28, v30
	v_dual_sub_f32 v47, v48, v50 :: v_dual_sub_f32 v56, v30, v33
	s_delay_alu instid0(VALU_DEP_2) | instskip(SKIP_1) | instid1(VALU_DEP_1)
	v_dual_sub_f32 v51, v31, v30 :: v_dual_add_f32 v62, v16, v31
	v_mul_f32_e32 v49, v35, v21
	v_fma_f32 v32, v34, v20, -v49
	v_add_f32_e32 v49, v30, v33
	s_delay_alu instid0(VALU_DEP_2) | instskip(NEXT) | instid1(VALU_DEP_2)
	v_dual_sub_f32 v34, v30, v31 :: v_dual_add_f32 v17, v31, v32
	v_fma_f32 v30, -0.5, v49, v28
	s_delay_alu instid0(VALU_DEP_2) | instskip(NEXT) | instid1(VALU_DEP_2)
	v_fma_f32 v16, -0.5, v17, v28
	v_fmamk_f32 v28, v47, 0xbf737871, v30
	s_delay_alu instid0(VALU_DEP_1) | instskip(SKIP_2) | instid1(VALU_DEP_3)
	v_dual_fmac_f32 v28, 0x3f167918, v45 :: v_dual_sub_f32 v35, v33, v32
	v_dual_fmac_f32 v30, 0x3f737871, v47 :: v_dual_sub_f32 v57, v31, v32
	v_fma_f32 v31, -0.5, v60, v29
	v_dual_add_f32 v63, v34, v35 :: v_dual_fmamk_f32 v34, v45, 0x3f737871, v16
	v_dual_sub_f32 v53, v32, v33 :: v_dual_add_f32 v32, v62, v32
	v_dual_fmac_f32 v16, 0xbf737871, v45 :: v_dual_add_f32 v55, v48, v50
	s_delay_alu instid0(VALU_DEP_3) | instskip(SKIP_1) | instid1(VALU_DEP_4)
	v_fmac_f32_e32 v34, 0x3f167918, v47
	v_fmac_f32_e32 v30, 0xbf167918, v45
	v_add_f32_e32 v32, v32, v33
	s_delay_alu instid0(VALU_DEP_4)
	v_dual_fmac_f32 v16, 0xbf167918, v47 :: v_dual_add_f32 v49, v51, v53
	v_add_f32_e32 v35, v54, v48
	v_fma_f32 v17, -0.5, v55, v29
	v_fmamk_f32 v29, v57, 0x3f737871, v31
	v_fmac_f32_e32 v31, 0xbf737871, v57
	v_fmac_f32_e32 v30, 0x3e9e377a, v49
	s_delay_alu instid0(VALU_DEP_4)
	v_dual_add_f32 v50, v35, v50 :: v_dual_fmamk_f32 v35, v56, 0xbf737871, v17
	v_fmac_f32_e32 v17, 0x3f737871, v56
	v_fmac_f32_e32 v29, 0xbf167918, v56
	;; [unrolled: 1-line block ×7, first 2 shown]
	v_add_f32_e32 v48, v58, v59
	v_dual_add_f32 v33, v50, v52 :: v_dual_fmac_f32 v16, 0x3e9e377a, v63
	v_fmac_f32_e32 v29, 0x3e9e377a, v46
	v_fmac_f32_e32 v31, 0x3e9e377a, v46
	s_delay_alu instid0(VALU_DEP_4)
	v_fmac_f32_e32 v35, 0x3e9e377a, v48
	v_fmac_f32_e32 v17, 0x3e9e377a, v48
	ds_store_2addr_b64 v40, v[32:33], v[34:35] offset1:175
	ds_store_2addr_b64 v44, v[28:29], v[30:31] offset0:30 offset1:205
	ds_store_b64 v40, v[16:17] offset:5600
	global_wb scope:SCOPE_SE
	s_wait_dscnt 0x0
	s_barrier_signal -1
	s_barrier_wait -1
	global_inv scope:SCOPE_SE
	s_and_saveexec_b32 s4, vcc_lo
	s_cbranch_execz .LBB0_9
; %bb.8:
	global_load_b64 v[44:45], v40, s[12:13] offset:7000
	s_add_nc_u64 s[6:7], s[12:13], 0x1b58
	s_clause 0x5
	global_load_b64 v[56:57], v40, s[6:7] offset:1000
	global_load_b64 v[58:59], v40, s[6:7] offset:2000
	;; [unrolled: 1-line block ×6, first 2 shown]
	ds_load_b64 v[46:47], v40
	v_add_nc_u32_e32 v69, 0x800, v40
	v_add_nc_u32_e32 v70, 0x1000, v40
	s_wait_loadcnt_dscnt 0x600
	v_mul_f32_e32 v48, v47, v45
	v_mul_f32_e32 v49, v46, v45
	s_delay_alu instid0(VALU_DEP_2) | instskip(NEXT) | instid1(VALU_DEP_2)
	v_fma_f32 v48, v46, v44, -v48
	v_fmac_f32_e32 v49, v47, v44
	ds_store_b64 v40, v[48:49]
	ds_load_2addr_b64 v[44:47], v40 offset0:125 offset1:250
	ds_load_2addr_b64 v[48:51], v69 offset0:119 offset1:244
	ds_load_2addr_b64 v[52:55], v70 offset0:113 offset1:238
	s_wait_loadcnt_dscnt 0x502
	v_mul_f32_e32 v68, v44, v57
	s_wait_loadcnt 0x4
	v_dual_mul_f32 v71, v45, v57 :: v_dual_mul_f32 v72, v47, v59
	v_mul_f32_e32 v57, v46, v59
	s_wait_loadcnt_dscnt 0x201
	v_dual_mul_f32 v73, v49, v61 :: v_dual_mul_f32 v74, v51, v63
	s_wait_loadcnt_dscnt 0x0
	v_dual_mul_f32 v59, v48, v61 :: v_dual_mul_f32 v76, v55, v67
	v_mul_f32_e32 v61, v50, v63
	v_mul_f32_e32 v75, v53, v65
	;; [unrolled: 1-line block ×4, first 2 shown]
	v_fma_f32 v67, v44, v56, -v71
	v_fmac_f32_e32 v68, v45, v56
	v_fma_f32 v56, v46, v58, -v72
	v_fmac_f32_e32 v57, v47, v58
	;; [unrolled: 2-line block ×6, first 2 shown]
	ds_store_2addr_b64 v40, v[67:68], v[56:57] offset0:125 offset1:250
	ds_store_2addr_b64 v69, v[58:59], v[60:61] offset0:119 offset1:244
	;; [unrolled: 1-line block ×3, first 2 shown]
.LBB0_9:
	s_wait_alu 0xfffe
	s_or_b32 exec_lo, exec_lo, s4
	global_wb scope:SCOPE_SE
	s_wait_dscnt 0x0
	s_barrier_signal -1
	s_barrier_wait -1
	global_inv scope:SCOPE_SE
	s_and_saveexec_b32 s4, vcc_lo
	s_cbranch_execz .LBB0_11
; %bb.10:
	v_add_nc_u32_e32 v16, 0x400, v40
	v_add_nc_u32_e32 v17, 0xc00, v40
	ds_load_2addr_b64 v[32:35], v40 offset1:125
	ds_load_2addr_b64 v[28:31], v16 offset0:122 offset1:247
	ds_load_2addr_b64 v[16:19], v17 offset0:116 offset1:241
	ds_load_b64 v[37:38], v40 offset:6000
.LBB0_11:
	s_wait_alu 0xfffe
	s_or_b32 exec_lo, exec_lo, s4
	global_wb scope:SCOPE_SE
	s_wait_dscnt 0x0
	s_barrier_signal -1
	s_barrier_wait -1
	global_inv scope:SCOPE_SE
	s_and_saveexec_b32 s4, vcc_lo
	s_cbranch_execz .LBB0_13
; %bb.12:
	v_dual_sub_f32 v44, v16, v30 :: v_dual_add_f32 v47, v38, v35
	v_dual_sub_f32 v45, v28, v18 :: v_dual_sub_f32 v46, v34, v37
	v_add_f32_e32 v48, v31, v17
	v_add_f32_e32 v34, v37, v34
	s_delay_alu instid0(VALU_DEP_3) | instskip(NEXT) | instid1(VALU_DEP_4)
	v_dual_add_f32 v16, v30, v16 :: v_dual_sub_f32 v49, v44, v45
	v_dual_sub_f32 v37, v46, v44 :: v_dual_add_f32 v50, v19, v29
	v_add_f32_e32 v44, v44, v45
	s_delay_alu instid0(VALU_DEP_3) | instskip(SKIP_1) | instid1(VALU_DEP_4)
	v_dual_sub_f32 v54, v34, v16 :: v_dual_mul_f32 v49, 0x3f08b237, v49
	v_sub_f32_e32 v31, v17, v31
	v_add_f32_e32 v51, v50, v47
	s_delay_alu instid0(VALU_DEP_3) | instskip(SKIP_1) | instid1(VALU_DEP_3)
	v_dual_sub_f32 v19, v29, v19 :: v_dual_mul_f32 v54, 0x3f4a47b2, v54
	v_sub_f32_e32 v45, v45, v46
	v_dual_add_f32 v51, v48, v51 :: v_dual_add_f32 v28, v18, v28
	s_delay_alu instid0(VALU_DEP_3) | instskip(NEXT) | instid1(VALU_DEP_1)
	v_sub_f32_e32 v29, v31, v19
	v_dual_add_f32 v18, v33, v51 :: v_dual_mul_f32 v55, 0x3f08b237, v29
	s_delay_alu instid0(VALU_DEP_1) | instskip(NEXT) | instid1(VALU_DEP_4)
	v_fmamk_f32 v51, v51, 0xbf955555, v18
	v_dual_sub_f32 v30, v47, v48 :: v_dual_add_f32 v33, v28, v34
	v_sub_f32_e32 v48, v48, v50
	v_add_f32_e32 v44, v44, v46
	v_fmamk_f32 v52, v37, 0xbeae86e6, v49
	s_delay_alu instid0(VALU_DEP_4) | instskip(NEXT) | instid1(VALU_DEP_4)
	v_dual_mul_f32 v30, 0x3f4a47b2, v30 :: v_dual_add_f32 v33, v16, v33
	v_mul_f32_e32 v53, 0x3d64c772, v48
	v_sub_f32_e32 v16, v16, v28
	s_delay_alu instid0(VALU_DEP_4) | instskip(NEXT) | instid1(VALU_DEP_4)
	v_fmac_f32_e32 v52, 0xbee1c552, v44
	v_fmamk_f32 v48, v48, 0x3d64c772, v30
	v_dual_add_f32 v17, v32, v33 :: v_dual_sub_f32 v32, v35, v38
	v_sub_f32_e32 v47, v50, v47
	s_delay_alu instid0(VALU_DEP_2) | instskip(NEXT) | instid1(VALU_DEP_2)
	v_dual_add_f32 v48, v48, v51 :: v_dual_fmamk_f32 v33, v33, 0xbf955555, v17
	v_fma_f32 v30, 0xbf3bfb3b, v47, -v30
	s_delay_alu instid0(VALU_DEP_2) | instskip(SKIP_1) | instid1(VALU_DEP_1)
	v_add_f32_e32 v29, v52, v48
	v_dual_fmamk_f32 v35, v16, 0x3d64c772, v54 :: v_dual_mul_f32 v16, 0x3d64c772, v16
	v_add_f32_e32 v46, v35, v33
	v_dual_mul_f32 v35, 0xbf5ff5aa, v45 :: v_dual_sub_f32 v38, v32, v31
	v_add_f32_e32 v31, v31, v19
	v_dual_sub_f32 v19, v19, v32 :: v_dual_sub_f32 v28, v28, v34
	s_delay_alu instid0(VALU_DEP_3) | instskip(NEXT) | instid1(VALU_DEP_2)
	v_fma_f32 v37, 0x3eae86e6, v37, -v35
	v_dual_add_f32 v32, v31, v32 :: v_dual_mul_f32 v31, 0xbf5ff5aa, v19
	s_delay_alu instid0(VALU_DEP_3) | instskip(NEXT) | instid1(VALU_DEP_3)
	v_fma_f32 v34, 0xbf3bfb3b, v28, -v54
	v_fmac_f32_e32 v37, 0xbee1c552, v44
	v_fmamk_f32 v56, v38, 0xbeae86e6, v55
	v_fma_f32 v19, 0xbf5ff5aa, v19, -v55
	v_fma_f32 v50, 0x3eae86e6, v38, -v31
	v_add_f32_e32 v38, v30, v51
	v_add_f32_e32 v54, v34, v33
	v_fma_f32 v30, 0x3f3bfb3b, v47, -v53
	v_fma_f32 v34, 0xbf5ff5aa, v45, -v49
	;; [unrolled: 1-line block ×3, first 2 shown]
	v_add_f32_e32 v31, v37, v38
	s_delay_alu instid0(VALU_DEP_4) | instskip(NEXT) | instid1(VALU_DEP_4)
	v_dual_sub_f32 v45, v48, v52 :: v_dual_add_f32 v28, v30, v51
	v_fmac_f32_e32 v34, 0xbee1c552, v44
	s_delay_alu instid0(VALU_DEP_4) | instskip(SKIP_1) | instid1(VALU_DEP_3)
	v_add_f32_e32 v16, v16, v33
	v_sub_f32_e32 v38, v38, v37
	v_add_f32_e32 v35, v34, v28
	v_dual_sub_f32 v33, v28, v34 :: v_dual_fmac_f32 v50, 0xbee1c552, v32
	v_fmac_f32_e32 v19, 0xbee1c552, v32
	v_fmac_f32_e32 v56, 0xbee1c552, v32
	s_delay_alu instid0(VALU_DEP_3) | instskip(SKIP_1) | instid1(VALU_DEP_3)
	v_dual_add_f32 v37, v50, v54 :: v_dual_and_b32 v28, 0xffff, v41
	v_sub_f32_e32 v30, v54, v50
	v_add_f32_e32 v44, v46, v56
	s_delay_alu instid0(VALU_DEP_3)
	v_dual_sub_f32 v34, v16, v19 :: v_dual_lshlrev_b32 v41, 3, v28
	v_add_f32_e32 v32, v19, v16
	v_sub_f32_e32 v28, v46, v56
	ds_store_2addr_b64 v41, v[17:18], v[44:45] offset1:1
	ds_store_2addr_b64 v41, v[37:38], v[34:35] offset0:2 offset1:3
	ds_store_2addr_b64 v41, v[32:33], v[30:31] offset0:4 offset1:5
	ds_store_b64 v41, v[28:29] offset:48
.LBB0_13:
	s_wait_alu 0xfffe
	s_or_b32 exec_lo, exec_lo, s4
	global_wb scope:SCOPE_SE
	s_wait_dscnt 0x0
	s_barrier_signal -1
	s_barrier_wait -1
	global_inv scope:SCOPE_SE
	ds_load_2addr_b64 v[16:19], v40 offset1:175
	s_wait_dscnt 0x0
	v_dual_mul_f32 v35, v5, v19 :: v_dual_add_nc_u32 v34, 0xa00, v40
	ds_load_b64 v[32:33], v40 offset:5600
	ds_load_2addr_b64 v[28:31], v34 offset0:30 offset1:205
	v_mul_f32_e32 v5, v5, v18
	global_wb scope:SCOPE_SE
	s_wait_dscnt 0x0
	s_barrier_signal -1
	v_fmac_f32_e32 v35, v4, v18
	s_barrier_wait -1
	v_fma_f32 v18, v4, v19, -v5
	global_inv scope:SCOPE_SE
	v_dual_mul_f32 v19, v1, v31 :: v_dual_mul_f32 v4, v7, v28
	s_delay_alu instid0(VALU_DEP_1) | instskip(SKIP_1) | instid1(VALU_DEP_1)
	v_fmac_f32_e32 v19, v0, v30
	v_mul_f32_e32 v5, v7, v29
	v_fmac_f32_e32 v5, v6, v28
	s_delay_alu instid0(VALU_DEP_4) | instskip(NEXT) | instid1(VALU_DEP_2)
	v_fma_f32 v28, v6, v29, -v4
	v_add_f32_e32 v6, v5, v19
	v_mul_f32_e32 v1, v1, v30
	v_mul_f32_e32 v37, v3, v33
	s_delay_alu instid0(VALU_DEP_2) | instskip(SKIP_1) | instid1(VALU_DEP_2)
	v_fma_f32 v29, v0, v31, -v1
	v_dual_add_f32 v0, v16, v35 :: v_dual_mul_f32 v3, v3, v32
	v_sub_f32_e32 v7, v28, v29
	s_delay_alu instid0(VALU_DEP_2) | instskip(NEXT) | instid1(VALU_DEP_3)
	v_dual_fmac_f32 v37, v2, v32 :: v_dual_add_f32 v4, v0, v5
	v_fma_f32 v32, v2, v33, -v3
	s_delay_alu instid0(VALU_DEP_2) | instskip(NEXT) | instid1(VALU_DEP_1)
	v_add_f32_e32 v2, v35, v37
	v_fma_f32 v0, -0.5, v2, v16
	s_delay_alu instid0(VALU_DEP_3) | instskip(SKIP_1) | instid1(VALU_DEP_1)
	v_sub_f32_e32 v1, v18, v32
	v_fma_f32 v2, -0.5, v6, v16
	v_fmamk_f32 v6, v1, 0xbf737871, v2
	v_add_f32_e32 v16, v4, v19
	v_dual_fmamk_f32 v4, v7, 0x3f737871, v0 :: v_dual_sub_f32 v33, v37, v19
	v_sub_f32_e32 v38, v19, v37
	s_delay_alu instid0(VALU_DEP_4) | instskip(NEXT) | instid1(VALU_DEP_4)
	v_dual_sub_f32 v31, v35, v5 :: v_dual_fmac_f32 v6, 0xbf167918, v7
	v_add_f32_e32 v16, v16, v37
	v_sub_f32_e32 v30, v35, v37
	s_delay_alu instid0(VALU_DEP_3) | instskip(NEXT) | instid1(VALU_DEP_1)
	v_add_f32_e32 v31, v31, v33
	v_fmac_f32_e32 v6, 0x3e9e377a, v31
	v_dual_fmac_f32 v0, 0xbf737871, v7 :: v_dual_add_f32 v3, v17, v18
	v_dual_fmac_f32 v2, 0x3f737871, v1 :: v_dual_sub_f32 v35, v5, v35
	v_fmac_f32_e32 v4, 0xbf167918, v1
	s_delay_alu instid0(VALU_DEP_3) | instskip(NEXT) | instid1(VALU_DEP_3)
	v_dual_fmac_f32 v0, 0x3f167918, v1 :: v_dual_add_f32 v41, v3, v28
	v_dual_fmac_f32 v2, 0x3f167918, v7 :: v_dual_add_f32 v3, v28, v29
	s_delay_alu instid0(VALU_DEP_4) | instskip(SKIP_2) | instid1(VALU_DEP_4)
	v_add_f32_e32 v33, v35, v38
	v_add_f32_e32 v1, v18, v32
	v_sub_f32_e32 v19, v5, v19
	v_fmac_f32_e32 v2, 0x3e9e377a, v31
	v_fma_f32 v3, -0.5, v3, v17
	v_fmac_f32_e32 v0, 0x3e9e377a, v33
	v_fmac_f32_e32 v4, 0x3e9e377a, v33
	v_fma_f32 v1, -0.5, v1, v17
	v_sub_f32_e32 v17, v18, v28
	v_fmamk_f32 v7, v30, 0x3f737871, v3
	v_sub_f32_e32 v33, v32, v29
	s_delay_alu instid0(VALU_DEP_4)
	v_dual_sub_f32 v18, v28, v18 :: v_dual_fmamk_f32 v5, v19, 0xbf737871, v1
	v_dual_sub_f32 v28, v29, v32 :: v_dual_fmac_f32 v1, 0x3f737871, v19
	v_fmac_f32_e32 v3, 0xbf737871, v30
	v_add_f32_e32 v31, v41, v29
	v_fmac_f32_e32 v7, 0x3f167918, v19
	v_add_f32_e32 v29, v17, v33
	v_dual_fmac_f32 v5, 0x3f167918, v30 :: v_dual_add_f32 v18, v18, v28
	v_fmac_f32_e32 v1, 0xbf167918, v30
	v_fmac_f32_e32 v3, 0xbf167918, v19
	v_add_f32_e32 v17, v31, v32
	v_fmac_f32_e32 v7, 0x3e9e377a, v29
	v_fmac_f32_e32 v5, 0x3e9e377a, v18
	;; [unrolled: 1-line block ×4, first 2 shown]
	ds_store_2addr_b64 v42, v[16:17], v[6:7] offset1:7
	ds_store_2addr_b64 v42, v[4:5], v[0:1] offset0:14 offset1:21
	ds_store_b64 v42, v[2:3] offset:224
	global_wb scope:SCOPE_SE
	s_wait_dscnt 0x0
	s_barrier_signal -1
	s_barrier_wait -1
	global_inv scope:SCOPE_SE
	ds_load_2addr_b64 v[0:3], v34 offset0:30 offset1:205
	ds_load_2addr_b64 v[4:7], v40 offset1:175
	ds_load_b64 v[16:17], v40 offset:5600
	global_wb scope:SCOPE_SE
	s_wait_dscnt 0x0
	s_barrier_signal -1
	s_barrier_wait -1
	global_inv scope:SCOPE_SE
	v_mul_f32_e32 v18, v15, v1
	v_mul_f32_e32 v28, v13, v7
	;; [unrolled: 1-line block ×3, first 2 shown]
	s_delay_alu instid0(VALU_DEP_3) | instskip(SKIP_1) | instid1(VALU_DEP_4)
	v_dual_mul_f32 v19, v9, v3 :: v_dual_fmac_f32 v18, v14, v0
	v_mul_f32_e32 v0, v15, v0
	v_fmac_f32_e32 v28, v12, v6
	s_delay_alu instid0(VALU_DEP_4) | instskip(NEXT) | instid1(VALU_DEP_3)
	v_fma_f32 v7, v12, v7, -v13
	v_fma_f32 v12, v14, v1, -v0
	v_mul_f32_e32 v1, v9, v2
	s_delay_alu instid0(VALU_DEP_4) | instskip(NEXT) | instid1(VALU_DEP_2)
	v_dual_mul_f32 v9, v11, v17 :: v_dual_sub_f32 v6, v28, v18
	v_fma_f32 v14, v8, v3, -v1
	s_delay_alu instid0(VALU_DEP_1) | instskip(SKIP_3) | instid1(VALU_DEP_3)
	v_sub_f32_e32 v3, v12, v14
	v_fmac_f32_e32 v19, v8, v2
	v_mul_f32_e32 v15, v11, v16
	v_add_f32_e32 v2, v4, v28
	v_add_f32_e32 v0, v18, v19
	s_delay_alu instid0(VALU_DEP_3) | instskip(NEXT) | instid1(VALU_DEP_2)
	v_fma_f32 v13, v10, v17, -v15
	v_fma_f32 v0, -0.5, v0, v4
	s_delay_alu instid0(VALU_DEP_2) | instskip(SKIP_2) | instid1(VALU_DEP_3)
	v_sub_f32_e32 v11, v7, v13
	v_fmac_f32_e32 v9, v10, v16
	v_add_f32_e32 v1, v2, v18
	v_dual_sub_f32 v17, v13, v14 :: v_dual_fmamk_f32 v2, v11, 0xbf737871, v0
	v_fmac_f32_e32 v0, 0x3f737871, v11
	s_delay_alu instid0(VALU_DEP_4) | instskip(SKIP_1) | instid1(VALU_DEP_4)
	v_add_f32_e32 v10, v28, v9
	v_sub_f32_e32 v16, v28, v9
	v_fmac_f32_e32 v2, 0xbf167918, v3
	s_delay_alu instid0(VALU_DEP_4) | instskip(SKIP_3) | instid1(VALU_DEP_3)
	v_fmac_f32_e32 v0, 0x3f167918, v3
	v_sub_f32_e32 v8, v9, v19
	v_fma_f32 v4, -0.5, v10, v4
	v_dual_sub_f32 v10, v18, v28 :: v_dual_sub_f32 v15, v19, v9
	v_add_f32_e32 v8, v6, v8
	s_delay_alu instid0(VALU_DEP_1)
	v_fmac_f32_e32 v2, 0x3e9e377a, v8
	v_fmac_f32_e32 v0, 0x3e9e377a, v8
	v_fmamk_f32 v8, v3, 0x3f737871, v4
	v_fmac_f32_e32 v4, 0xbf737871, v3
	v_add_f32_e32 v3, v5, v7
	v_add_f32_e32 v1, v1, v19
	s_delay_alu instid0(VALU_DEP_1) | instskip(NEXT) | instid1(VALU_DEP_3)
	v_dual_add_f32 v6, v1, v9 :: v_dual_add_f32 v9, v10, v15
	v_dual_add_f32 v10, v3, v12 :: v_dual_sub_f32 v15, v18, v19
	s_delay_alu instid0(VALU_DEP_1) | instskip(SKIP_2) | instid1(VALU_DEP_2)
	v_add_f32_e32 v10, v10, v14
	v_dual_fmac_f32 v8, 0xbf167918, v11 :: v_dual_add_f32 v1, v12, v14
	v_dual_fmac_f32 v4, 0x3f167918, v11 :: v_dual_add_f32 v11, v7, v13
	v_fmac_f32_e32 v8, 0x3e9e377a, v9
	s_delay_alu instid0(VALU_DEP_3) | instskip(NEXT) | instid1(VALU_DEP_3)
	v_fma_f32 v1, -0.5, v1, v5
	v_fma_f32 v5, -0.5, v11, v5
	v_sub_f32_e32 v11, v7, v12
	v_sub_f32_e32 v7, v12, v7
	s_delay_alu instid0(VALU_DEP_4) | instskip(SKIP_1) | instid1(VALU_DEP_4)
	v_dual_fmamk_f32 v3, v16, 0x3f737871, v1 :: v_dual_sub_f32 v12, v14, v13
	v_fmac_f32_e32 v1, 0xbf737871, v16
	v_add_f32_e32 v11, v11, v17
	s_delay_alu instid0(VALU_DEP_3)
	v_dual_fmac_f32 v3, 0x3f167918, v15 :: v_dual_add_f32 v12, v7, v12
	v_fmac_f32_e32 v4, 0x3e9e377a, v9
	v_fmamk_f32 v9, v15, 0xbf737871, v5
	v_fmac_f32_e32 v5, 0x3f737871, v15
	v_fmac_f32_e32 v1, 0xbf167918, v15
	v_add_f32_e32 v7, v10, v13
	v_fmac_f32_e32 v3, 0x3e9e377a, v11
	v_fmac_f32_e32 v9, 0x3f167918, v16
	;; [unrolled: 1-line block ×4, first 2 shown]
	s_delay_alu instid0(VALU_DEP_3) | instskip(NEXT) | instid1(VALU_DEP_3)
	v_fmac_f32_e32 v9, 0x3e9e377a, v12
	v_fmac_f32_e32 v5, 0x3e9e377a, v12
	ds_store_2addr_b64 v43, v[6:7], v[2:3] offset1:35
	ds_store_2addr_b64 v43, v[8:9], v[4:5] offset0:70 offset1:105
	ds_store_b64 v43, v[0:1] offset:1120
	global_wb scope:SCOPE_SE
	s_wait_dscnt 0x0
	s_barrier_signal -1
	s_barrier_wait -1
	global_inv scope:SCOPE_SE
	ds_load_2addr_b64 v[0:3], v34 offset0:30 offset1:205
	ds_load_2addr_b64 v[4:7], v40 offset1:175
	ds_load_b64 v[8:9], v40 offset:5600
	s_wait_dscnt 0x2
	v_mul_f32_e32 v10, v27, v1
	s_wait_dscnt 0x1
	v_mul_f32_e32 v12, v25, v7
	;; [unrolled: 2-line block ×3, first 2 shown]
	v_fmac_f32_e32 v10, v26, v0
	v_mul_f32_e32 v0, v27, v0
	s_delay_alu instid0(VALU_DEP_3) | instskip(SKIP_1) | instid1(VALU_DEP_3)
	v_fma_f32 v14, v22, v9, -v14
	v_fmac_f32_e32 v12, v24, v6
	v_fma_f32 v15, v26, v1, -v0
	v_mul_f32_e32 v1, v21, v2
	s_delay_alu instid0(VALU_DEP_1) | instskip(NEXT) | instid1(VALU_DEP_1)
	v_fma_f32 v16, v20, v3, -v1
	v_sub_f32_e32 v17, v15, v16
	v_mul_f32_e32 v13, v25, v6
	v_sub_f32_e32 v6, v12, v10
	s_delay_alu instid0(VALU_DEP_2) | instskip(SKIP_1) | instid1(VALU_DEP_1)
	v_fma_f32 v13, v24, v7, -v13
	v_mul_f32_e32 v7, v23, v9
	v_fmac_f32_e32 v7, v22, v8
	s_delay_alu instid0(VALU_DEP_3) | instskip(SKIP_1) | instid1(VALU_DEP_3)
	v_sub_f32_e32 v9, v13, v14
	v_mul_f32_e32 v11, v21, v3
	v_add_f32_e32 v3, v12, v7
	s_delay_alu instid0(VALU_DEP_2) | instskip(SKIP_1) | instid1(VALU_DEP_2)
	v_fmac_f32_e32 v11, v20, v2
	v_add_f32_e32 v2, v4, v12
	v_add_f32_e32 v0, v10, v11
	s_delay_alu instid0(VALU_DEP_2) | instskip(NEXT) | instid1(VALU_DEP_2)
	v_dual_add_f32 v1, v2, v10 :: v_dual_sub_f32 v8, v7, v11
	v_fma_f32 v0, -0.5, v0, v4
	v_fma_f32 v4, -0.5, v3, v4
	s_delay_alu instid0(VALU_DEP_2) | instskip(SKIP_1) | instid1(VALU_DEP_3)
	v_dual_add_f32 v3, v6, v8 :: v_dual_fmamk_f32 v2, v9, 0xbf737871, v0
	v_fmac_f32_e32 v0, 0x3f737871, v9
	v_fmamk_f32 v6, v17, 0x3f737871, v4
	v_fmac_f32_e32 v4, 0xbf737871, v17
	s_delay_alu instid0(VALU_DEP_4) | instskip(NEXT) | instid1(VALU_DEP_4)
	v_fmac_f32_e32 v2, 0xbf167918, v17
	v_fmac_f32_e32 v0, 0x3f167918, v17
	s_delay_alu instid0(VALU_DEP_2) | instskip(NEXT) | instid1(VALU_DEP_2)
	v_dual_add_f32 v17, v5, v13 :: v_dual_fmac_f32 v2, 0x3e9e377a, v3
	v_dual_fmac_f32 v0, 0x3e9e377a, v3 :: v_dual_sub_f32 v3, v10, v12
	v_sub_f32_e32 v12, v12, v7
	v_dual_fmac_f32 v6, 0xbf167918, v9 :: v_dual_add_f32 v1, v1, v11
	v_fmac_f32_e32 v4, 0x3f167918, v9
	v_sub_f32_e32 v18, v11, v7
	v_add_f32_e32 v9, v17, v15
	v_add_f32_e32 v17, v13, v14
	v_dual_add_f32 v8, v1, v7 :: v_dual_add_f32 v1, v15, v16
	s_delay_alu instid0(VALU_DEP_4) | instskip(SKIP_2) | instid1(VALU_DEP_4)
	v_dual_add_f32 v7, v3, v18 :: v_dual_sub_f32 v10, v10, v11
	v_sub_f32_e32 v11, v13, v15
	v_sub_f32_e32 v13, v15, v13
	v_fma_f32 v1, -0.5, v1, v5
	s_delay_alu instid0(VALU_DEP_4) | instskip(SKIP_2) | instid1(VALU_DEP_4)
	v_fmac_f32_e32 v6, 0x3e9e377a, v7
	v_fma_f32 v5, -0.5, v17, v5
	v_dual_sub_f32 v17, v14, v16 :: v_dual_fmac_f32 v4, 0x3e9e377a, v7
	v_fmamk_f32 v3, v12, 0x3f737871, v1
	v_sub_f32_e32 v15, v16, v14
	s_delay_alu instid0(VALU_DEP_4)
	v_fmamk_f32 v7, v10, 0xbf737871, v5
	v_fmac_f32_e32 v5, 0x3f737871, v10
	v_fmac_f32_e32 v1, 0xbf737871, v12
	v_add_f32_e32 v9, v9, v16
	v_fmac_f32_e32 v3, 0x3f167918, v10
	v_add_f32_e32 v11, v11, v17
	;; [unrolled: 2-line block ×3, first 2 shown]
	v_fmac_f32_e32 v5, 0xbf167918, v12
	v_fmac_f32_e32 v1, 0xbf167918, v10
	v_add_f32_e32 v9, v9, v14
	v_fmac_f32_e32 v3, 0x3e9e377a, v11
	v_fmac_f32_e32 v7, 0x3e9e377a, v13
	;; [unrolled: 1-line block ×4, first 2 shown]
	ds_store_2addr_b64 v40, v[8:9], v[2:3] offset1:175
	ds_store_2addr_b64 v34, v[6:7], v[4:5] offset0:30 offset1:205
	ds_store_b64 v40, v[0:1] offset:5600
	global_wb scope:SCOPE_SE
	s_wait_dscnt 0x0
	s_barrier_signal -1
	s_barrier_wait -1
	global_inv scope:SCOPE_SE
	s_and_b32 exec_lo, exec_lo, vcc_lo
	s_cbranch_execz .LBB0_15
; %bb.14:
	s_clause 0x6
	global_load_b64 v[12:13], v40, s[12:13]
	global_load_b64 v[14:15], v40, s[12:13] offset:1000
	global_load_b64 v[16:17], v40, s[12:13] offset:2000
	;; [unrolled: 1-line block ×6, first 2 shown]
	ds_load_b64 v[26:27], v40
	ds_load_2addr_b64 v[0:3], v40 offset0:125 offset1:250
	v_add_nc_u32_e32 v4, 0x800, v40
	v_add_nc_u32_e32 v8, 0x1000, v40
	s_mov_b32 s4, 0x835d548e
	s_mov_b32 s5, 0x3f52b97d
	s_wait_loadcnt_dscnt 0x601
	v_mul_f32_e32 v28, v27, v13
	v_mul_f32_e32 v13, v26, v13
	s_wait_loadcnt_dscnt 0x500
	v_mul_f32_e32 v29, v1, v15
	v_mul_f32_e32 v15, v0, v15
	ds_load_2addr_b64 v[4:7], v4 offset0:119 offset1:244
	ds_load_2addr_b64 v[8:11], v8 offset0:113 offset1:238
	s_wait_loadcnt 0x4
	v_mul_f32_e32 v30, v3, v17
	v_mul_f32_e32 v17, v2, v17
	v_fmac_f32_e32 v28, v26, v12
	v_fma_f32 v12, v12, v27, -v13
	v_fma_f32 v13, v14, v1, -v15
	s_wait_loadcnt_dscnt 0x301
	v_mul_f32_e32 v31, v5, v19
	s_wait_loadcnt 0x2
	v_dual_mul_f32 v19, v4, v19 :: v_dual_mul_f32 v32, v7, v21
	v_mul_f32_e32 v21, v6, v21
	s_wait_loadcnt_dscnt 0x0
	v_dual_mul_f32 v33, v9, v23 :: v_dual_mul_f32 v34, v11, v25
	v_mul_f32_e32 v23, v8, v23
	v_mul_f32_e32 v25, v10, v25
	v_dual_fmac_f32 v29, v0, v14 :: v_dual_fmac_f32 v30, v2, v16
	v_fma_f32 v14, v16, v3, -v17
	v_dual_fmac_f32 v31, v4, v18 :: v_dual_fmac_f32 v32, v6, v20
	v_fma_f32 v15, v18, v5, -v19
	v_fma_f32 v18, v20, v7, -v21
	v_dual_fmac_f32 v33, v8, v22 :: v_dual_fmac_f32 v34, v10, v24
	v_fma_f32 v22, v22, v9, -v23
	v_cvt_f64_f32_e32 v[0:1], v28
	v_cvt_f64_f32_e32 v[2:3], v12
	v_fma_f32 v26, v24, v11, -v25
	v_cvt_f64_f32_e32 v[4:5], v29
	v_cvt_f64_f32_e32 v[6:7], v13
	;; [unrolled: 1-line block ×12, first 2 shown]
	v_mad_co_u64_u32 v[28:29], null, s2, v36, 0
	v_mad_co_u64_u32 v[30:31], null, s0, v39, 0
	s_delay_alu instid0(VALU_DEP_1) | instskip(NEXT) | instid1(VALU_DEP_1)
	v_mad_co_u64_u32 v[32:33], null, s3, v36, v[29:30]
	v_mad_co_u64_u32 v[33:34], null, s1, v39, v[31:32]
	v_mov_b32_e32 v29, v32
	s_mul_u64 s[0:1], s[0:1], 0x3e8
	s_wait_alu 0xfffe
	v_mul_f64_e32 v[0:1], s[4:5], v[0:1]
	v_mul_f64_e32 v[2:3], s[4:5], v[2:3]
	v_lshlrev_b64_e32 v[28:29], 3, v[28:29]
	v_mul_f64_e32 v[4:5], s[4:5], v[4:5]
	v_mul_f64_e32 v[6:7], s[4:5], v[6:7]
	;; [unrolled: 1-line block ×12, first 2 shown]
	v_mov_b32_e32 v31, v33
	v_add_co_u32 v28, vcc_lo, s8, v28
	v_add_co_ci_u32_e32 v29, vcc_lo, s9, v29, vcc_lo
	s_delay_alu instid0(VALU_DEP_3)
	v_lshlrev_b64_e32 v[30:31], 3, v[30:31]
	v_cvt_f32_f64_e32 v0, v[0:1]
	v_cvt_f32_f64_e32 v1, v[2:3]
	;; [unrolled: 1-line block ×14, first 2 shown]
	v_add_co_u32 v14, vcc_lo, v28, v30
	s_wait_alu 0xfffd
	v_add_co_ci_u32_e32 v15, vcc_lo, v29, v31, vcc_lo
	s_delay_alu instid0(VALU_DEP_2) | instskip(SKIP_1) | instid1(VALU_DEP_2)
	v_add_co_u32 v16, vcc_lo, v14, s0
	s_wait_alu 0xfffd
	v_add_co_ci_u32_e32 v17, vcc_lo, s1, v15, vcc_lo
	s_delay_alu instid0(VALU_DEP_2) | instskip(SKIP_1) | instid1(VALU_DEP_2)
	;; [unrolled: 4-line block ×6, first 2 shown]
	v_add_co_u32 v26, vcc_lo, v24, s0
	s_wait_alu 0xfffd
	v_add_co_ci_u32_e32 v27, vcc_lo, s1, v25, vcc_lo
	s_clause 0x4
	global_store_b64 v[14:15], v[0:1], off
	global_store_b64 v[16:17], v[2:3], off
	;; [unrolled: 1-line block ×7, first 2 shown]
.LBB0_15:
	s_nop 0
	s_sendmsg sendmsg(MSG_DEALLOC_VGPRS)
	s_endpgm
	.section	.rodata,"a",@progbits
	.p2align	6, 0x0
	.amdhsa_kernel bluestein_single_back_len875_dim1_sp_op_CI_CI
		.amdhsa_group_segment_fixed_size 7000
		.amdhsa_private_segment_fixed_size 0
		.amdhsa_kernarg_size 104
		.amdhsa_user_sgpr_count 2
		.amdhsa_user_sgpr_dispatch_ptr 0
		.amdhsa_user_sgpr_queue_ptr 0
		.amdhsa_user_sgpr_kernarg_segment_ptr 1
		.amdhsa_user_sgpr_dispatch_id 0
		.amdhsa_user_sgpr_private_segment_size 0
		.amdhsa_wavefront_size32 1
		.amdhsa_uses_dynamic_stack 0
		.amdhsa_enable_private_segment 0
		.amdhsa_system_sgpr_workgroup_id_x 1
		.amdhsa_system_sgpr_workgroup_id_y 0
		.amdhsa_system_sgpr_workgroup_id_z 0
		.amdhsa_system_sgpr_workgroup_info 0
		.amdhsa_system_vgpr_workitem_id 0
		.amdhsa_next_free_vgpr 77
		.amdhsa_next_free_sgpr 14
		.amdhsa_reserve_vcc 1
		.amdhsa_float_round_mode_32 0
		.amdhsa_float_round_mode_16_64 0
		.amdhsa_float_denorm_mode_32 3
		.amdhsa_float_denorm_mode_16_64 3
		.amdhsa_fp16_overflow 0
		.amdhsa_workgroup_processor_mode 1
		.amdhsa_memory_ordered 1
		.amdhsa_forward_progress 0
		.amdhsa_round_robin_scheduling 0
		.amdhsa_exception_fp_ieee_invalid_op 0
		.amdhsa_exception_fp_denorm_src 0
		.amdhsa_exception_fp_ieee_div_zero 0
		.amdhsa_exception_fp_ieee_overflow 0
		.amdhsa_exception_fp_ieee_underflow 0
		.amdhsa_exception_fp_ieee_inexact 0
		.amdhsa_exception_int_div_zero 0
	.end_amdhsa_kernel
	.text
.Lfunc_end0:
	.size	bluestein_single_back_len875_dim1_sp_op_CI_CI, .Lfunc_end0-bluestein_single_back_len875_dim1_sp_op_CI_CI
                                        ; -- End function
	.section	.AMDGPU.csdata,"",@progbits
; Kernel info:
; codeLenInByte = 7224
; NumSgprs: 16
; NumVgprs: 77
; ScratchSize: 0
; MemoryBound: 0
; FloatMode: 240
; IeeeMode: 1
; LDSByteSize: 7000 bytes/workgroup (compile time only)
; SGPRBlocks: 1
; VGPRBlocks: 9
; NumSGPRsForWavesPerEU: 16
; NumVGPRsForWavesPerEU: 77
; Occupancy: 15
; WaveLimiterHint : 1
; COMPUTE_PGM_RSRC2:SCRATCH_EN: 0
; COMPUTE_PGM_RSRC2:USER_SGPR: 2
; COMPUTE_PGM_RSRC2:TRAP_HANDLER: 0
; COMPUTE_PGM_RSRC2:TGID_X_EN: 1
; COMPUTE_PGM_RSRC2:TGID_Y_EN: 0
; COMPUTE_PGM_RSRC2:TGID_Z_EN: 0
; COMPUTE_PGM_RSRC2:TIDIG_COMP_CNT: 0
	.text
	.p2alignl 7, 3214868480
	.fill 96, 4, 3214868480
	.type	__hip_cuid_87e715ab4f987ae1,@object ; @__hip_cuid_87e715ab4f987ae1
	.section	.bss,"aw",@nobits
	.globl	__hip_cuid_87e715ab4f987ae1
__hip_cuid_87e715ab4f987ae1:
	.byte	0                               ; 0x0
	.size	__hip_cuid_87e715ab4f987ae1, 1

	.ident	"AMD clang version 19.0.0git (https://github.com/RadeonOpenCompute/llvm-project roc-6.4.0 25133 c7fe45cf4b819c5991fe208aaa96edf142730f1d)"
	.section	".note.GNU-stack","",@progbits
	.addrsig
	.addrsig_sym __hip_cuid_87e715ab4f987ae1
	.amdgpu_metadata
---
amdhsa.kernels:
  - .args:
      - .actual_access:  read_only
        .address_space:  global
        .offset:         0
        .size:           8
        .value_kind:     global_buffer
      - .actual_access:  read_only
        .address_space:  global
        .offset:         8
        .size:           8
        .value_kind:     global_buffer
      - .actual_access:  read_only
        .address_space:  global
        .offset:         16
        .size:           8
        .value_kind:     global_buffer
      - .actual_access:  read_only
        .address_space:  global
        .offset:         24
        .size:           8
        .value_kind:     global_buffer
      - .actual_access:  read_only
        .address_space:  global
        .offset:         32
        .size:           8
        .value_kind:     global_buffer
      - .offset:         40
        .size:           8
        .value_kind:     by_value
      - .address_space:  global
        .offset:         48
        .size:           8
        .value_kind:     global_buffer
      - .address_space:  global
        .offset:         56
        .size:           8
        .value_kind:     global_buffer
      - .address_space:  global
        .offset:         64
        .size:           8
        .value_kind:     global_buffer
      - .address_space:  global
        .offset:         72
        .size:           8
        .value_kind:     global_buffer
      - .offset:         80
        .size:           4
        .value_kind:     by_value
      - .address_space:  global
        .offset:         88
        .size:           8
        .value_kind:     global_buffer
      - .address_space:  global
        .offset:         96
        .size:           8
        .value_kind:     global_buffer
    .group_segment_fixed_size: 7000
    .kernarg_segment_align: 8
    .kernarg_segment_size: 104
    .language:       OpenCL C
    .language_version:
      - 2
      - 0
    .max_flat_workgroup_size: 175
    .name:           bluestein_single_back_len875_dim1_sp_op_CI_CI
    .private_segment_fixed_size: 0
    .sgpr_count:     16
    .sgpr_spill_count: 0
    .symbol:         bluestein_single_back_len875_dim1_sp_op_CI_CI.kd
    .uniform_work_group_size: 1
    .uses_dynamic_stack: false
    .vgpr_count:     77
    .vgpr_spill_count: 0
    .wavefront_size: 32
    .workgroup_processor_mode: 1
amdhsa.target:   amdgcn-amd-amdhsa--gfx1201
amdhsa.version:
  - 1
  - 2
...

	.end_amdgpu_metadata
